;; amdgpu-corpus repo=ROCm/rocFFT kind=compiled arch=gfx906 opt=O3
	.text
	.amdgcn_target "amdgcn-amd-amdhsa--gfx906"
	.amdhsa_code_object_version 6
	.protected	fft_rtc_fwd_len11_factors_11_wgs_128_tpt_1_half_ip_CI_unitstride_sbrr_dirReg ; -- Begin function fft_rtc_fwd_len11_factors_11_wgs_128_tpt_1_half_ip_CI_unitstride_sbrr_dirReg
	.globl	fft_rtc_fwd_len11_factors_11_wgs_128_tpt_1_half_ip_CI_unitstride_sbrr_dirReg
	.p2align	8
	.type	fft_rtc_fwd_len11_factors_11_wgs_128_tpt_1_half_ip_CI_unitstride_sbrr_dirReg,@function
fft_rtc_fwd_len11_factors_11_wgs_128_tpt_1_half_ip_CI_unitstride_sbrr_dirReg: ; @fft_rtc_fwd_len11_factors_11_wgs_128_tpt_1_half_ip_CI_unitstride_sbrr_dirReg
; %bb.0:
	s_load_dwordx2 s[8:9], s[4:5], 0x8
	s_load_dwordx2 s[2:3], s[4:5], 0x50
	;; [unrolled: 1-line block ×3, first 2 shown]
	v_lshl_or_b32 v4, s6, 7, v0
	v_mov_b32_e32 v2, 0
	s_waitcnt lgkmcnt(0)
	v_cmp_lt_u64_e64 s[0:1], s[8:9], 2
	v_mov_b32_e32 v0, 0
	v_mov_b32_e32 v5, v2
	s_and_b64 vcc, exec, s[0:1]
	v_mov_b32_e32 v1, 0
	s_cbranch_vccnz .LBB0_8
; %bb.1:
	s_load_dwordx2 s[0:1], s[4:5], 0x10
	s_add_u32 s6, s10, 8
	s_addc_u32 s7, s11, 0
	v_mov_b32_e32 v0, 0
	v_mov_b32_e32 v1, 0
	s_waitcnt lgkmcnt(0)
	s_add_u32 s12, s0, 8
	s_addc_u32 s13, s1, 0
	s_mov_b64 s[14:15], 1
.LBB0_2:                                ; =>This Inner Loop Header: Depth=1
	s_load_dwordx2 s[16:17], s[12:13], 0x0
                                        ; implicit-def: $vgpr6_vgpr7
	s_waitcnt lgkmcnt(0)
	v_or_b32_e32 v3, s17, v5
	v_cmp_ne_u64_e32 vcc, 0, v[2:3]
	s_and_saveexec_b64 s[0:1], vcc
	s_xor_b64 s[18:19], exec, s[0:1]
	s_cbranch_execz .LBB0_4
; %bb.3:                                ;   in Loop: Header=BB0_2 Depth=1
	v_cvt_f32_u32_e32 v3, s16
	v_cvt_f32_u32_e32 v6, s17
	s_sub_u32 s0, 0, s16
	s_subb_u32 s1, 0, s17
	v_mac_f32_e32 v3, 0x4f800000, v6
	v_rcp_f32_e32 v3, v3
	v_mul_f32_e32 v3, 0x5f7ffffc, v3
	v_mul_f32_e32 v6, 0x2f800000, v3
	v_trunc_f32_e32 v6, v6
	v_mac_f32_e32 v3, 0xcf800000, v6
	v_cvt_u32_f32_e32 v6, v6
	v_cvt_u32_f32_e32 v3, v3
	v_mul_lo_u32 v7, s0, v6
	v_mul_hi_u32 v8, s0, v3
	v_mul_lo_u32 v10, s1, v3
	v_mul_lo_u32 v9, s0, v3
	v_add_u32_e32 v7, v8, v7
	v_add_u32_e32 v7, v7, v10
	v_mul_hi_u32 v8, v3, v9
	v_mul_lo_u32 v10, v3, v7
	v_mul_hi_u32 v12, v3, v7
	v_mul_hi_u32 v11, v6, v9
	v_mul_lo_u32 v9, v6, v9
	v_mul_hi_u32 v13, v6, v7
	v_add_co_u32_e32 v8, vcc, v8, v10
	v_addc_co_u32_e32 v10, vcc, 0, v12, vcc
	v_mul_lo_u32 v7, v6, v7
	v_add_co_u32_e32 v8, vcc, v8, v9
	v_addc_co_u32_e32 v8, vcc, v10, v11, vcc
	v_addc_co_u32_e32 v9, vcc, 0, v13, vcc
	v_add_co_u32_e32 v7, vcc, v8, v7
	v_addc_co_u32_e32 v8, vcc, 0, v9, vcc
	v_add_co_u32_e32 v3, vcc, v3, v7
	v_addc_co_u32_e32 v6, vcc, v6, v8, vcc
	v_mul_lo_u32 v7, s0, v6
	v_mul_hi_u32 v8, s0, v3
	v_mul_lo_u32 v9, s1, v3
	v_mul_lo_u32 v10, s0, v3
	v_add_u32_e32 v7, v8, v7
	v_add_u32_e32 v7, v7, v9
	v_mul_lo_u32 v11, v3, v7
	v_mul_hi_u32 v12, v3, v10
	v_mul_hi_u32 v13, v3, v7
	;; [unrolled: 1-line block ×3, first 2 shown]
	v_mul_lo_u32 v10, v6, v10
	v_mul_hi_u32 v8, v6, v7
	v_add_co_u32_e32 v11, vcc, v12, v11
	v_addc_co_u32_e32 v12, vcc, 0, v13, vcc
	v_mul_lo_u32 v7, v6, v7
	v_add_co_u32_e32 v10, vcc, v11, v10
	v_addc_co_u32_e32 v9, vcc, v12, v9, vcc
	v_addc_co_u32_e32 v8, vcc, 0, v8, vcc
	v_add_co_u32_e32 v7, vcc, v9, v7
	v_addc_co_u32_e32 v8, vcc, 0, v8, vcc
	v_add_co_u32_e32 v3, vcc, v3, v7
	v_addc_co_u32_e32 v8, vcc, v6, v8, vcc
	v_mad_u64_u32 v[6:7], s[0:1], v4, v8, 0
	v_mul_hi_u32 v9, v4, v3
	v_add_co_u32_e32 v10, vcc, v9, v6
	v_addc_co_u32_e32 v11, vcc, 0, v7, vcc
	v_mad_u64_u32 v[6:7], s[0:1], v5, v3, 0
	v_mad_u64_u32 v[8:9], s[0:1], v5, v8, 0
	v_add_co_u32_e32 v3, vcc, v10, v6
	v_addc_co_u32_e32 v3, vcc, v11, v7, vcc
	v_addc_co_u32_e32 v6, vcc, 0, v9, vcc
	v_add_co_u32_e32 v3, vcc, v3, v8
	v_addc_co_u32_e32 v8, vcc, 0, v6, vcc
	v_mul_lo_u32 v9, s17, v3
	v_mul_lo_u32 v10, s16, v8
	v_mad_u64_u32 v[6:7], s[0:1], s16, v3, 0
	v_add3_u32 v7, v7, v10, v9
	v_sub_u32_e32 v9, v5, v7
	v_mov_b32_e32 v10, s17
	v_sub_co_u32_e32 v6, vcc, v4, v6
	v_subb_co_u32_e64 v9, s[0:1], v9, v10, vcc
	v_subrev_co_u32_e64 v10, s[0:1], s16, v6
	v_subbrev_co_u32_e64 v9, s[0:1], 0, v9, s[0:1]
	v_cmp_le_u32_e64 s[0:1], s17, v9
	v_cndmask_b32_e64 v11, 0, -1, s[0:1]
	v_cmp_le_u32_e64 s[0:1], s16, v10
	v_cndmask_b32_e64 v10, 0, -1, s[0:1]
	v_cmp_eq_u32_e64 s[0:1], s17, v9
	v_cndmask_b32_e64 v9, v11, v10, s[0:1]
	v_add_co_u32_e64 v10, s[0:1], 2, v3
	v_addc_co_u32_e64 v11, s[0:1], 0, v8, s[0:1]
	v_add_co_u32_e64 v12, s[0:1], 1, v3
	v_addc_co_u32_e64 v13, s[0:1], 0, v8, s[0:1]
	v_subb_co_u32_e32 v7, vcc, v5, v7, vcc
	v_cmp_ne_u32_e64 s[0:1], 0, v9
	v_cmp_le_u32_e32 vcc, s17, v7
	v_cndmask_b32_e64 v9, v13, v11, s[0:1]
	v_cndmask_b32_e64 v11, 0, -1, vcc
	v_cmp_le_u32_e32 vcc, s16, v6
	v_cndmask_b32_e64 v6, 0, -1, vcc
	v_cmp_eq_u32_e32 vcc, s17, v7
	v_cndmask_b32_e32 v6, v11, v6, vcc
	v_cmp_ne_u32_e32 vcc, 0, v6
	v_cndmask_b32_e64 v6, v12, v10, s[0:1]
	v_cndmask_b32_e32 v7, v8, v9, vcc
	v_cndmask_b32_e32 v6, v3, v6, vcc
.LBB0_4:                                ;   in Loop: Header=BB0_2 Depth=1
	s_andn2_saveexec_b64 s[0:1], s[18:19]
	s_cbranch_execz .LBB0_6
; %bb.5:                                ;   in Loop: Header=BB0_2 Depth=1
	v_cvt_f32_u32_e32 v3, s16
	s_sub_i32 s18, 0, s16
	v_rcp_iflag_f32_e32 v3, v3
	v_mul_f32_e32 v3, 0x4f7ffffe, v3
	v_cvt_u32_f32_e32 v3, v3
	v_mul_lo_u32 v6, s18, v3
	v_mul_hi_u32 v6, v3, v6
	v_add_u32_e32 v3, v3, v6
	v_mul_hi_u32 v3, v4, v3
	v_mul_lo_u32 v6, v3, s16
	v_add_u32_e32 v7, 1, v3
	v_sub_u32_e32 v6, v4, v6
	v_subrev_u32_e32 v8, s16, v6
	v_cmp_le_u32_e32 vcc, s16, v6
	v_cndmask_b32_e32 v6, v6, v8, vcc
	v_cndmask_b32_e32 v3, v3, v7, vcc
	v_add_u32_e32 v7, 1, v3
	v_cmp_le_u32_e32 vcc, s16, v6
	v_cndmask_b32_e32 v6, v3, v7, vcc
	v_mov_b32_e32 v7, v2
.LBB0_6:                                ;   in Loop: Header=BB0_2 Depth=1
	s_or_b64 exec, exec, s[0:1]
	v_mul_lo_u32 v3, v7, s16
	v_mul_lo_u32 v10, v6, s17
	v_mad_u64_u32 v[8:9], s[0:1], v6, s16, 0
	s_load_dwordx2 s[0:1], s[6:7], 0x0
	s_add_u32 s14, s14, 1
	v_add3_u32 v3, v9, v10, v3
	v_sub_co_u32_e32 v4, vcc, v4, v8
	v_subb_co_u32_e32 v3, vcc, v5, v3, vcc
	s_waitcnt lgkmcnt(0)
	v_mul_lo_u32 v3, s0, v3
	v_mul_lo_u32 v5, s1, v4
	v_mad_u64_u32 v[0:1], s[0:1], s0, v4, v[0:1]
	s_addc_u32 s15, s15, 0
	s_add_u32 s6, s6, 8
	v_add3_u32 v1, v5, v1, v3
	v_mov_b32_e32 v3, s8
	v_mov_b32_e32 v4, s9
	s_addc_u32 s7, s7, 0
	v_cmp_ge_u64_e32 vcc, s[14:15], v[3:4]
	s_add_u32 s12, s12, 8
	s_addc_u32 s13, s13, 0
	s_cbranch_vccnz .LBB0_9
; %bb.7:                                ;   in Loop: Header=BB0_2 Depth=1
	v_mov_b32_e32 v4, v6
	v_mov_b32_e32 v5, v7
	s_branch .LBB0_2
.LBB0_8:
	v_mov_b32_e32 v7, v5
	v_mov_b32_e32 v6, v4
.LBB0_9:
	s_lshl_b64 s[0:1], s[8:9], 3
	s_add_u32 s0, s10, s0
	s_addc_u32 s1, s11, s1
	s_load_dwordx2 s[6:7], s[0:1], 0x0
	s_load_dwordx2 s[8:9], s[4:5], 0x20
                                        ; implicit-def: $vgpr12
                                        ; implicit-def: $vgpr13
                                        ; implicit-def: $vgpr14
                                        ; implicit-def: $vgpr15
                                        ; implicit-def: $vgpr16
                                        ; implicit-def: $vgpr4
                                        ; implicit-def: $vgpr17
                                        ; implicit-def: $vgpr11
                                        ; implicit-def: $vgpr18
                                        ; implicit-def: $vgpr19
                                        ; implicit-def: $vgpr20
                                        ; implicit-def: $vgpr21
                                        ; implicit-def: $vgpr22
	s_waitcnt lgkmcnt(0)
	v_mul_lo_u32 v2, s6, v7
	v_mul_lo_u32 v3, s7, v6
	v_mad_u64_u32 v[0:1], s[0:1], s6, v6, v[0:1]
	v_cmp_gt_u64_e32 vcc, s[8:9], v[6:7]
	v_add3_u32 v1, v3, v1, v2
	v_lshlrev_b64 v[8:9], 2, v[0:1]
                                        ; implicit-def: $vgpr0
	s_and_saveexec_b64 s[4:5], vcc
	s_cbranch_execnz .LBB0_12
; %bb.10:
	s_or_b64 exec, exec, s[4:5]
	s_and_saveexec_b64 s[0:1], vcc
	s_cbranch_execnz .LBB0_13
.LBB0_11:
	s_endpgm
.LBB0_12:
	v_mov_b32_e32 v0, s3
	v_add_co_u32_e64 v12, s[0:1], s2, v8
	v_addc_co_u32_e64 v13, s[0:1], v0, v9, s[0:1]
	global_load_dwordx4 v[0:3], v[12:13], off offset:4
	global_load_dwordx4 v[4:7], v[12:13], off offset:20
	global_load_dwordx2 v[10:11], v[12:13], off offset:36
	global_load_dword v22, v[12:13], off
	s_waitcnt vmcnt(3)
	v_lshrrev_b32_e32 v12, 16, v0
	v_lshrrev_b32_e32 v13, 16, v1
	v_lshrrev_b32_e32 v14, 16, v2
	v_lshrrev_b32_e32 v15, 16, v3
	s_waitcnt vmcnt(2)
	v_lshrrev_b32_e32 v16, 16, v4
	v_lshrrev_b32_e32 v21, 16, v5
	;; [unrolled: 1-line block ×4, first 2 shown]
	s_waitcnt vmcnt(1)
	v_lshrrev_b32_e32 v18, 16, v10
	v_lshrrev_b32_e32 v17, 16, v11
	s_or_b64 exec, exec, s[4:5]
	s_and_saveexec_b64 s[0:1], vcc
	s_cbranch_execz .LBB0_11
.LBB0_13:
	s_waitcnt vmcnt(0)
	v_add_f16_e32 v27, v0, v22
	v_add_f16_e32 v27, v1, v27
	;; [unrolled: 1-line block ×6, first 2 shown]
	v_sub_f16_e32 v23, v0, v11
	v_sub_f16_e32 v26, v3, v6
	v_add_f16_e32 v3, v3, v6
	v_add_f16_e32 v6, v6, v27
	v_sub_f16_e32 v24, v1, v10
	v_sub_f16_e32 v25, v2, v7
	v_add_f16_e32 v2, v2, v7
	v_add_f16_e32 v6, v7, v6
	v_sub_f16_e32 v7, v4, v5
	v_add_f16_e32 v4, v4, v5
	v_mul_f16_e32 v5, 0xb482, v23
	v_add_f16_e32 v27, v12, v17
	s_mov_b32 s0, 0xbbad
	v_fma_f16 v28, v27, s0, v5
	s_movk_i32 s4, 0x3abb
	v_mul_f16_e32 v29, 0x3853, v24
	v_add_f16_e32 v30, v13, v18
	v_add_f16_sdwa v28, v28, v22 dst_sel:DWORD dst_unused:UNUSED_PAD src0_sel:DWORD src1_sel:WORD_1
	v_fma_f16 v31, v30, s4, v29
	v_add_f16_e32 v28, v31, v28
	s_mov_b32 s1, 0xb93d
	v_mul_f16_e32 v31, 0xba0c, v25
	v_add_f16_e32 v32, v14, v19
	v_fma_f16 v33, v32, s1, v31
	v_add_f16_e32 v28, v33, v28
	s_movk_i32 s5, 0x36a6
	v_mul_f16_e32 v33, 0x3b47, v26
	v_add_f16_e32 v34, v15, v20
	v_fma_f16 v35, v34, s5, v33
	v_add_f16_e32 v28, v35, v28
	s_mov_b32 s6, 0xb08e
	v_mul_f16_e32 v35, 0xbbeb, v7
	v_add_f16_e32 v36, v16, v21
	v_add_f16_e32 v0, v0, v11
	v_fma_f16 v37, v36, s6, v35
	v_add_f16_e32 v1, v1, v10
	v_add_f16_e32 v28, v37, v28
	s_movk_i32 s9, 0x3482
	v_mul_f16_e32 v37, 0xbbad, v0
	v_sub_f16_e32 v38, v12, v17
	v_fma_f16 v39, v38, s9, v37
	s_mov_b32 s7, 0xb853
	v_mul_f16_e32 v40, 0x3abb, v1
	v_sub_f16_e32 v41, v13, v18
	v_add_f16_e32 v39, v39, v22
	v_fma_f16 v42, v41, s7, v40
	v_add_f16_e32 v39, v42, v39
	s_movk_i32 s12, 0x3a0c
	v_mul_f16_e32 v42, 0xb93d, v2
	v_sub_f16_e32 v43, v14, v19
	v_fma_f16 v44, v43, s12, v42
	v_add_f16_e32 v39, v44, v39
	s_mov_b32 s8, 0xbb47
	v_mul_f16_e32 v44, 0x36a6, v3
	v_sub_f16_e32 v45, v15, v20
	v_fma_f16 v46, v45, s8, v44
	v_add_f16_e32 v39, v46, v39
	s_movk_i32 s10, 0x3beb
	v_mul_f16_e32 v46, 0xb08e, v4
	v_sub_f16_e32 v47, v16, v21
	v_fma_f16 v48, v47, s10, v46
	v_add_f16_e32 v39, v48, v39
	v_mul_f16_e32 v48, 0xba0c, v23
	v_fma_f16 v49, v27, s1, v48
	v_mul_f16_e32 v50, 0x3beb, v24
	v_add_f16_sdwa v49, v49, v22 dst_sel:DWORD dst_unused:UNUSED_PAD src0_sel:DWORD src1_sel:WORD_1
	v_fma_f16 v51, v30, s6, v50
	v_add_f16_e32 v49, v51, v49
	v_mul_f16_e32 v51, 0xb853, v25
	v_fma_f16 v52, v32, s4, v51
	v_add_f16_e32 v49, v52, v49
	v_mul_f16_e32 v52, 0xb482, v26
	;; [unrolled: 3-line block ×4, first 2 shown]
	s_mov_b32 s11, 0xbbeb
	v_fma_f16 v55, v38, s12, v54
	v_mul_f16_e32 v56, 0xb08e, v1
	v_add_f16_e32 v55, v55, v22
	v_fma_f16 v57, v41, s11, v56
	v_add_f16_e32 v55, v57, v55
	s_movk_i32 s13, 0x3853
	v_mul_f16_e32 v57, 0x3abb, v2
	v_fma_f16 v58, v43, s13, v57
	v_add_f16_e32 v55, v58, v55
	v_mul_f16_e32 v58, 0xbbad, v3
	v_fma_f16 v59, v45, s9, v58
	v_add_f16_e32 v55, v59, v55
	;; [unrolled: 3-line block ×3, first 2 shown]
	v_mul_f16_e32 v60, 0xbbeb, v23
	v_fma_f16 v61, v27, s6, v60
	v_mul_f16_e32 v62, 0x3482, v24
	v_add_f16_sdwa v61, v61, v22 dst_sel:DWORD dst_unused:UNUSED_PAD src0_sel:DWORD src1_sel:WORD_1
	v_fma_f16 v63, v30, s0, v62
	v_add_f16_e32 v61, v63, v61
	v_mul_f16_e32 v63, 0x3b47, v25
	v_fma_f16 v64, v32, s5, v63
	v_add_f16_e32 v61, v64, v61
	v_mul_f16_e32 v64, 0xb853, v26
	;; [unrolled: 3-line block ×4, first 2 shown]
	s_mov_b32 s14, 0xb482
	v_fma_f16 v67, v38, s10, v66
	v_mul_f16_e32 v68, 0xbbad, v1
	v_add_f16_e32 v67, v67, v22
	v_fma_f16 v69, v41, s14, v68
	v_add_f16_e32 v67, v69, v67
	v_mul_f16_e32 v69, 0x36a6, v2
	v_fma_f16 v70, v43, s8, v69
	v_add_f16_e32 v67, v70, v67
	v_mul_f16_e32 v70, 0x3abb, v3
	v_fma_f16 v71, v45, s13, v70
	v_add_f16_e32 v67, v71, v67
	v_mul_f16_e32 v71, 0xb93d, v4
	v_fma_f16 v72, v47, s12, v71
	v_add_f16_e32 v67, v72, v67
	v_mul_f16_e32 v72, 0xbb47, v23
	v_fma_f16 v73, v27, s5, v72
	v_mul_f16_e32 v74, 0xba0c, v24
	v_add_f16_sdwa v73, v73, v22 dst_sel:DWORD dst_unused:UNUSED_PAD src0_sel:DWORD src1_sel:WORD_1
	v_fma_f16 v75, v30, s1, v74
	v_add_f16_e32 v73, v75, v73
	v_mul_f16_e32 v75, 0x3482, v25
	v_fma_f16 v76, v32, s0, v75
	v_add_f16_e32 v73, v76, v73
	v_mul_f16_e32 v76, 0x3beb, v26
	;; [unrolled: 3-line block ×3, first 2 shown]
	v_fma_f16 v78, v36, s4, v77
	v_add_f16_e32 v73, v78, v73
	s_movk_i32 s15, 0x3b47
	v_mul_f16_e32 v78, 0x36a6, v0
	v_fma_f16 v79, v38, s15, v78
	v_mul_f16_e32 v80, 0xb93d, v1
	v_add_f16_e32 v79, v79, v22
	v_fma_f16 v81, v41, s12, v80
	v_add_f16_e32 v79, v81, v79
	v_mul_f16_e32 v81, 0xbbad, v2
	v_fma_f16 v82, v43, s14, v81
	v_add_f16_e32 v79, v82, v79
	v_mul_f16_e32 v82, 0xb08e, v3
	v_fma_f16 v83, v45, s11, v82
	v_add_f16_e32 v79, v83, v79
	v_mul_f16_e32 v83, 0x3abb, v4
	v_fma_f16 v84, v47, s7, v83
	v_mul_f16_e32 v23, 0xb853, v23
	v_add_f16_e32 v79, v84, v79
	v_fma_f16 v84, v27, s4, v23
	v_mul_f16_e32 v24, 0xbb47, v24
	v_add_f16_sdwa v84, v84, v22 dst_sel:DWORD dst_unused:UNUSED_PAD src0_sel:DWORD src1_sel:WORD_1
	v_fma_f16 v85, v30, s5, v24
	v_mul_f16_e32 v25, 0xbbeb, v25
	v_add_f16_e32 v84, v85, v84
	v_fma_f16 v85, v32, s6, v25
	v_mul_f16_e32 v26, 0xba0c, v26
	v_fma_f16 v5, v27, s0, -v5
	v_add_f16_e32 v84, v85, v84
	v_fma_f16 v85, v34, s1, v26
	v_mul_f16_e32 v7, 0xb482, v7
	v_add_f16_sdwa v5, v5, v22 dst_sel:DWORD dst_unused:UNUSED_PAD src0_sel:DWORD src1_sel:WORD_1
	v_fma_f16 v29, v30, s4, -v29
	v_add_f16_e32 v84, v85, v84
	v_fma_f16 v85, v36, s0, v7
	v_mul_f16_e32 v0, 0x3abb, v0
	v_add_f16_e32 v5, v29, v5
	v_fma_f16 v29, v32, s1, -v31
	v_add_f16_e32 v84, v85, v84
	v_fma_f16 v85, v38, s13, v0
	v_mul_f16_e32 v1, 0x36a6, v1
	v_add_f16_e32 v5, v29, v5
	;; [unrolled: 5-line block ×4, first 2 shown]
	v_fma_f16 v5, v38, s14, v37
	v_add_f16_e32 v85, v86, v85
	v_fma_f16 v86, v45, s12, v3
	v_add_f16_e32 v5, v5, v22
	v_fma_f16 v31, v41, s13, v40
	s_mov_b32 s12, 0xba0c
	v_add_f16_e32 v5, v31, v5
	v_fma_f16 v31, v43, s12, v42
	v_add_f16_e32 v5, v31, v5
	v_fma_f16 v31, v45, s15, v44
	v_add_f16_e32 v5, v31, v5
	v_fma_f16 v31, v47, s11, v46
	v_add_f16_e32 v31, v31, v5
	v_fma_f16 v5, v27, s1, -v48
	v_add_f16_sdwa v5, v5, v22 dst_sel:DWORD dst_unused:UNUSED_PAD src0_sel:DWORD src1_sel:WORD_1
	v_fma_f16 v33, v30, s6, -v50
	v_add_f16_e32 v5, v33, v5
	v_fma_f16 v33, v32, s4, -v51
	v_add_f16_e32 v5, v33, v5
	v_fma_f16 v33, v34, s0, -v52
	v_add_f16_e32 v5, v33, v5
	v_fma_f16 v33, v36, s5, -v53
	v_add_f16_e32 v33, v33, v5
	v_fma_f16 v5, v38, s12, v54
	v_add_f16_e32 v5, v5, v22
	v_fma_f16 v35, v41, s10, v56
	v_add_f16_e32 v5, v35, v5
	v_fma_f16 v35, v43, s7, v57
	v_add_f16_e32 v5, v35, v5
	v_fma_f16 v35, v45, s14, v58
	v_add_f16_e32 v5, v35, v5
	v_fma_f16 v35, v47, s15, v59
	v_add_f16_e32 v35, v35, v5
	v_fma_f16 v5, v27, s6, -v60
	v_add_f16_sdwa v5, v5, v22 dst_sel:DWORD dst_unused:UNUSED_PAD src0_sel:DWORD src1_sel:WORD_1
	v_fma_f16 v37, v30, s0, -v62
	v_add_f16_e32 v5, v37, v5
	v_fma_f16 v37, v32, s5, -v63
	v_add_f16_e32 v5, v37, v5
	v_fma_f16 v37, v34, s4, -v64
	v_add_f16_e32 v5, v37, v5
	v_fma_f16 v37, v36, s1, -v65
	v_add_f16_e32 v37, v37, v5
	v_fma_f16 v5, v38, s11, v66
	v_add_f16_e32 v5, v5, v22
	v_fma_f16 v40, v41, s9, v68
	;; [unrolled: 20-line block ×3, first 2 shown]
	v_add_f16_e32 v5, v44, v5
	v_fma_f16 v44, v43, s9, v81
	v_add_f16_e32 v5, v44, v5
	v_fma_f16 v44, v45, s10, v82
	v_add_f16_e32 v5, v44, v5
	v_fma_f16 v44, v47, s13, v83
	v_fma_f16 v0, v38, s7, v0
	v_add_f16_e32 v44, v44, v5
	v_fma_f16 v5, v27, s4, -v23
	v_fma_f16 v1, v41, s8, v1
	v_add_f16_e32 v0, v0, v22
	v_fma_f16 v23, v30, s5, -v24
	v_add_f16_sdwa v5, v5, v22 dst_sel:DWORD dst_unused:UNUSED_PAD src0_sel:DWORD src1_sel:WORD_1
	v_add_f16_e32 v0, v1, v0
	v_fma_f16 v1, v43, s11, v2
	v_mul_f16_e32 v4, 0xbbad, v4
	v_add_f16_e32 v5, v23, v5
	v_fma_f16 v23, v32, s6, -v25
	v_add_f16_e32 v0, v1, v0
	v_fma_f16 v1, v45, s12, v3
	v_add_f16_e32 v5, v23, v5
	v_fma_f16 v23, v34, s1, -v26
	v_add_f16_e32 v0, v1, v0
	v_fma_f16 v1, v47, s14, v4
	v_add_f16_e32 v5, v23, v5
	v_add_f16_e32 v23, v1, v0
	v_add_f16_sdwa v0, v12, v22 dst_sel:DWORD dst_unused:UNUSED_PAD src0_sel:DWORD src1_sel:WORD_1
	v_add_f16_e32 v0, v13, v0
	v_add_f16_e32 v0, v14, v0
	;; [unrolled: 1-line block ×9, first 2 shown]
	v_add_f16_sdwa v0, v17, v0 dst_sel:WORD_1 dst_unused:UNUSED_PAD src0_sel:DWORD src1_sel:DWORD
	v_add_f16_e32 v1, v11, v1
	v_add_f16_e32 v85, v86, v85
	v_fma_f16 v86, v47, s9, v4
	v_fma_f16 v7, v36, s0, -v7
	v_or_b32_e32 v0, v0, v1
	v_mov_b32_e32 v1, s3
	v_add_co_u32_e32 v4, vcc, s2, v8
	v_add_f16_e32 v85, v86, v85
	v_add_f16_e32 v7, v7, v5
	v_addc_co_u32_e32 v5, vcc, v1, v9, vcc
	global_store_dword v[4:5], v0, off
	v_pack_b32_f16 v3, v55, v49
	v_pack_b32_f16 v2, v67, v61
	;; [unrolled: 1-line block ×4, first 2 shown]
	global_store_dwordx4 v[4:5], v[0:3], off offset:4
	s_nop 0
	v_pack_b32_f16 v3, v40, v37
	v_pack_b32_f16 v2, v35, v33
	;; [unrolled: 1-line block ×4, first 2 shown]
	global_store_dwordx4 v[4:5], v[0:3], off offset:20
	s_nop 0
	v_pack_b32_f16 v1, v23, v7
	v_pack_b32_f16 v0, v44, v42
	global_store_dwordx2 v[4:5], v[0:1], off offset:36
	s_endpgm
	.section	.rodata,"a",@progbits
	.p2align	6, 0x0
	.amdhsa_kernel fft_rtc_fwd_len11_factors_11_wgs_128_tpt_1_half_ip_CI_unitstride_sbrr_dirReg
		.amdhsa_group_segment_fixed_size 0
		.amdhsa_private_segment_fixed_size 0
		.amdhsa_kernarg_size 88
		.amdhsa_user_sgpr_count 6
		.amdhsa_user_sgpr_private_segment_buffer 1
		.amdhsa_user_sgpr_dispatch_ptr 0
		.amdhsa_user_sgpr_queue_ptr 0
		.amdhsa_user_sgpr_kernarg_segment_ptr 1
		.amdhsa_user_sgpr_dispatch_id 0
		.amdhsa_user_sgpr_flat_scratch_init 0
		.amdhsa_user_sgpr_private_segment_size 0
		.amdhsa_uses_dynamic_stack 0
		.amdhsa_system_sgpr_private_segment_wavefront_offset 0
		.amdhsa_system_sgpr_workgroup_id_x 1
		.amdhsa_system_sgpr_workgroup_id_y 0
		.amdhsa_system_sgpr_workgroup_id_z 0
		.amdhsa_system_sgpr_workgroup_info 0
		.amdhsa_system_vgpr_workitem_id 0
		.amdhsa_next_free_vgpr 87
		.amdhsa_next_free_sgpr 20
		.amdhsa_reserve_vcc 1
		.amdhsa_reserve_flat_scratch 0
		.amdhsa_float_round_mode_32 0
		.amdhsa_float_round_mode_16_64 0
		.amdhsa_float_denorm_mode_32 3
		.amdhsa_float_denorm_mode_16_64 3
		.amdhsa_dx10_clamp 1
		.amdhsa_ieee_mode 1
		.amdhsa_fp16_overflow 0
		.amdhsa_exception_fp_ieee_invalid_op 0
		.amdhsa_exception_fp_denorm_src 0
		.amdhsa_exception_fp_ieee_div_zero 0
		.amdhsa_exception_fp_ieee_overflow 0
		.amdhsa_exception_fp_ieee_underflow 0
		.amdhsa_exception_fp_ieee_inexact 0
		.amdhsa_exception_int_div_zero 0
	.end_amdhsa_kernel
	.text
.Lfunc_end0:
	.size	fft_rtc_fwd_len11_factors_11_wgs_128_tpt_1_half_ip_CI_unitstride_sbrr_dirReg, .Lfunc_end0-fft_rtc_fwd_len11_factors_11_wgs_128_tpt_1_half_ip_CI_unitstride_sbrr_dirReg
                                        ; -- End function
	.section	.AMDGPU.csdata,"",@progbits
; Kernel info:
; codeLenInByte = 3264
; NumSgprs: 24
; NumVgprs: 87
; ScratchSize: 0
; MemoryBound: 0
; FloatMode: 240
; IeeeMode: 1
; LDSByteSize: 0 bytes/workgroup (compile time only)
; SGPRBlocks: 2
; VGPRBlocks: 21
; NumSGPRsForWavesPerEU: 24
; NumVGPRsForWavesPerEU: 87
; Occupancy: 2
; WaveLimiterHint : 1
; COMPUTE_PGM_RSRC2:SCRATCH_EN: 0
; COMPUTE_PGM_RSRC2:USER_SGPR: 6
; COMPUTE_PGM_RSRC2:TRAP_HANDLER: 0
; COMPUTE_PGM_RSRC2:TGID_X_EN: 1
; COMPUTE_PGM_RSRC2:TGID_Y_EN: 0
; COMPUTE_PGM_RSRC2:TGID_Z_EN: 0
; COMPUTE_PGM_RSRC2:TIDIG_COMP_CNT: 0
	.type	__hip_cuid_8312fcebd8344c1b,@object ; @__hip_cuid_8312fcebd8344c1b
	.section	.bss,"aw",@nobits
	.globl	__hip_cuid_8312fcebd8344c1b
__hip_cuid_8312fcebd8344c1b:
	.byte	0                               ; 0x0
	.size	__hip_cuid_8312fcebd8344c1b, 1

	.ident	"AMD clang version 19.0.0git (https://github.com/RadeonOpenCompute/llvm-project roc-6.4.0 25133 c7fe45cf4b819c5991fe208aaa96edf142730f1d)"
	.section	".note.GNU-stack","",@progbits
	.addrsig
	.addrsig_sym __hip_cuid_8312fcebd8344c1b
	.amdgpu_metadata
---
amdhsa.kernels:
  - .args:
      - .actual_access:  read_only
        .address_space:  global
        .offset:         0
        .size:           8
        .value_kind:     global_buffer
      - .offset:         8
        .size:           8
        .value_kind:     by_value
      - .actual_access:  read_only
        .address_space:  global
        .offset:         16
        .size:           8
        .value_kind:     global_buffer
      - .actual_access:  read_only
        .address_space:  global
        .offset:         24
        .size:           8
        .value_kind:     global_buffer
      - .offset:         32
        .size:           8
        .value_kind:     by_value
      - .actual_access:  read_only
        .address_space:  global
        .offset:         40
        .size:           8
        .value_kind:     global_buffer
      - .actual_access:  read_only
        .address_space:  global
        .offset:         48
        .size:           8
        .value_kind:     global_buffer
      - .offset:         56
        .size:           4
        .value_kind:     by_value
      - .actual_access:  read_only
        .address_space:  global
        .offset:         64
        .size:           8
        .value_kind:     global_buffer
      - .actual_access:  read_only
        .address_space:  global
        .offset:         72
        .size:           8
        .value_kind:     global_buffer
      - .address_space:  global
        .offset:         80
        .size:           8
        .value_kind:     global_buffer
    .group_segment_fixed_size: 0
    .kernarg_segment_align: 8
    .kernarg_segment_size: 88
    .language:       OpenCL C
    .language_version:
      - 2
      - 0
    .max_flat_workgroup_size: 128
    .name:           fft_rtc_fwd_len11_factors_11_wgs_128_tpt_1_half_ip_CI_unitstride_sbrr_dirReg
    .private_segment_fixed_size: 0
    .sgpr_count:     24
    .sgpr_spill_count: 0
    .symbol:         fft_rtc_fwd_len11_factors_11_wgs_128_tpt_1_half_ip_CI_unitstride_sbrr_dirReg.kd
    .uniform_work_group_size: 1
    .uses_dynamic_stack: false
    .vgpr_count:     87
    .vgpr_spill_count: 0
    .wavefront_size: 64
amdhsa.target:   amdgcn-amd-amdhsa--gfx906
amdhsa.version:
  - 1
  - 2
...

	.end_amdgpu_metadata
